;; amdgpu-corpus repo=ROCm/rocFFT kind=compiled arch=gfx906 opt=O3
	.text
	.amdgcn_target "amdgcn-amd-amdhsa--gfx906"
	.amdhsa_code_object_version 6
	.protected	fft_rtc_fwd_len2400_factors_4_10_10_6_wgs_240_tpt_240_halfLds_sp_ip_CI_unitstride_sbrr_R2C_dirReg ; -- Begin function fft_rtc_fwd_len2400_factors_4_10_10_6_wgs_240_tpt_240_halfLds_sp_ip_CI_unitstride_sbrr_R2C_dirReg
	.globl	fft_rtc_fwd_len2400_factors_4_10_10_6_wgs_240_tpt_240_halfLds_sp_ip_CI_unitstride_sbrr_R2C_dirReg
	.p2align	8
	.type	fft_rtc_fwd_len2400_factors_4_10_10_6_wgs_240_tpt_240_halfLds_sp_ip_CI_unitstride_sbrr_R2C_dirReg,@function
fft_rtc_fwd_len2400_factors_4_10_10_6_wgs_240_tpt_240_halfLds_sp_ip_CI_unitstride_sbrr_R2C_dirReg: ; @fft_rtc_fwd_len2400_factors_4_10_10_6_wgs_240_tpt_240_halfLds_sp_ip_CI_unitstride_sbrr_R2C_dirReg
; %bb.0:
	s_load_dwordx2 s[2:3], s[4:5], 0x50
	s_load_dwordx4 s[8:11], s[4:5], 0x0
	s_load_dwordx2 s[12:13], s[4:5], 0x18
	v_mul_u32_u24_e32 v1, 0x112, v0
	v_add_u32_sdwa v5, s6, v1 dst_sel:DWORD dst_unused:UNUSED_PAD src0_sel:DWORD src1_sel:WORD_1
	v_mov_b32_e32 v3, 0
	s_waitcnt lgkmcnt(0)
	v_cmp_lt_u64_e64 s[0:1], s[10:11], 2
	v_mov_b32_e32 v1, 0
	v_mov_b32_e32 v6, v3
	s_and_b64 vcc, exec, s[0:1]
	v_mov_b32_e32 v2, 0
	s_cbranch_vccnz .LBB0_8
; %bb.1:
	s_load_dwordx2 s[0:1], s[4:5], 0x10
	s_add_u32 s6, s12, 8
	s_addc_u32 s7, s13, 0
	v_mov_b32_e32 v1, 0
	v_mov_b32_e32 v2, 0
	s_waitcnt lgkmcnt(0)
	s_add_u32 s14, s0, 8
	s_addc_u32 s15, s1, 0
	s_mov_b64 s[16:17], 1
.LBB0_2:                                ; =>This Inner Loop Header: Depth=1
	s_load_dwordx2 s[18:19], s[14:15], 0x0
                                        ; implicit-def: $vgpr7_vgpr8
	s_waitcnt lgkmcnt(0)
	v_or_b32_e32 v4, s19, v6
	v_cmp_ne_u64_e32 vcc, 0, v[3:4]
	s_and_saveexec_b64 s[0:1], vcc
	s_xor_b64 s[20:21], exec, s[0:1]
	s_cbranch_execz .LBB0_4
; %bb.3:                                ;   in Loop: Header=BB0_2 Depth=1
	v_cvt_f32_u32_e32 v4, s18
	v_cvt_f32_u32_e32 v7, s19
	s_sub_u32 s0, 0, s18
	s_subb_u32 s1, 0, s19
	v_mac_f32_e32 v4, 0x4f800000, v7
	v_rcp_f32_e32 v4, v4
	v_mul_f32_e32 v4, 0x5f7ffffc, v4
	v_mul_f32_e32 v7, 0x2f800000, v4
	v_trunc_f32_e32 v7, v7
	v_mac_f32_e32 v4, 0xcf800000, v7
	v_cvt_u32_f32_e32 v7, v7
	v_cvt_u32_f32_e32 v4, v4
	v_mul_lo_u32 v8, s0, v7
	v_mul_hi_u32 v9, s0, v4
	v_mul_lo_u32 v11, s1, v4
	v_mul_lo_u32 v10, s0, v4
	v_add_u32_e32 v8, v9, v8
	v_add_u32_e32 v8, v8, v11
	v_mul_hi_u32 v9, v4, v10
	v_mul_lo_u32 v11, v4, v8
	v_mul_hi_u32 v13, v4, v8
	v_mul_hi_u32 v12, v7, v10
	v_mul_lo_u32 v10, v7, v10
	v_mul_hi_u32 v14, v7, v8
	v_add_co_u32_e32 v9, vcc, v9, v11
	v_addc_co_u32_e32 v11, vcc, 0, v13, vcc
	v_mul_lo_u32 v8, v7, v8
	v_add_co_u32_e32 v9, vcc, v9, v10
	v_addc_co_u32_e32 v9, vcc, v11, v12, vcc
	v_addc_co_u32_e32 v10, vcc, 0, v14, vcc
	v_add_co_u32_e32 v8, vcc, v9, v8
	v_addc_co_u32_e32 v9, vcc, 0, v10, vcc
	v_add_co_u32_e32 v4, vcc, v4, v8
	v_addc_co_u32_e32 v7, vcc, v7, v9, vcc
	v_mul_lo_u32 v8, s0, v7
	v_mul_hi_u32 v9, s0, v4
	v_mul_lo_u32 v10, s1, v4
	v_mul_lo_u32 v11, s0, v4
	v_add_u32_e32 v8, v9, v8
	v_add_u32_e32 v8, v8, v10
	v_mul_lo_u32 v12, v4, v8
	v_mul_hi_u32 v13, v4, v11
	v_mul_hi_u32 v14, v4, v8
	;; [unrolled: 1-line block ×3, first 2 shown]
	v_mul_lo_u32 v11, v7, v11
	v_mul_hi_u32 v9, v7, v8
	v_add_co_u32_e32 v12, vcc, v13, v12
	v_addc_co_u32_e32 v13, vcc, 0, v14, vcc
	v_mul_lo_u32 v8, v7, v8
	v_add_co_u32_e32 v11, vcc, v12, v11
	v_addc_co_u32_e32 v10, vcc, v13, v10, vcc
	v_addc_co_u32_e32 v9, vcc, 0, v9, vcc
	v_add_co_u32_e32 v8, vcc, v10, v8
	v_addc_co_u32_e32 v9, vcc, 0, v9, vcc
	v_add_co_u32_e32 v4, vcc, v4, v8
	v_addc_co_u32_e32 v9, vcc, v7, v9, vcc
	v_mad_u64_u32 v[7:8], s[0:1], v5, v9, 0
	v_mul_hi_u32 v10, v5, v4
	v_add_co_u32_e32 v11, vcc, v10, v7
	v_addc_co_u32_e32 v12, vcc, 0, v8, vcc
	v_mad_u64_u32 v[7:8], s[0:1], v6, v4, 0
	v_mad_u64_u32 v[9:10], s[0:1], v6, v9, 0
	v_add_co_u32_e32 v4, vcc, v11, v7
	v_addc_co_u32_e32 v4, vcc, v12, v8, vcc
	v_addc_co_u32_e32 v7, vcc, 0, v10, vcc
	v_add_co_u32_e32 v4, vcc, v4, v9
	v_addc_co_u32_e32 v9, vcc, 0, v7, vcc
	v_mul_lo_u32 v10, s19, v4
	v_mul_lo_u32 v11, s18, v9
	v_mad_u64_u32 v[7:8], s[0:1], s18, v4, 0
	v_add3_u32 v8, v8, v11, v10
	v_sub_u32_e32 v10, v6, v8
	v_mov_b32_e32 v11, s19
	v_sub_co_u32_e32 v7, vcc, v5, v7
	v_subb_co_u32_e64 v10, s[0:1], v10, v11, vcc
	v_subrev_co_u32_e64 v11, s[0:1], s18, v7
	v_subbrev_co_u32_e64 v10, s[0:1], 0, v10, s[0:1]
	v_cmp_le_u32_e64 s[0:1], s19, v10
	v_cndmask_b32_e64 v12, 0, -1, s[0:1]
	v_cmp_le_u32_e64 s[0:1], s18, v11
	v_cndmask_b32_e64 v11, 0, -1, s[0:1]
	v_cmp_eq_u32_e64 s[0:1], s19, v10
	v_cndmask_b32_e64 v10, v12, v11, s[0:1]
	v_add_co_u32_e64 v11, s[0:1], 2, v4
	v_addc_co_u32_e64 v12, s[0:1], 0, v9, s[0:1]
	v_add_co_u32_e64 v13, s[0:1], 1, v4
	v_addc_co_u32_e64 v14, s[0:1], 0, v9, s[0:1]
	v_subb_co_u32_e32 v8, vcc, v6, v8, vcc
	v_cmp_ne_u32_e64 s[0:1], 0, v10
	v_cmp_le_u32_e32 vcc, s19, v8
	v_cndmask_b32_e64 v10, v14, v12, s[0:1]
	v_cndmask_b32_e64 v12, 0, -1, vcc
	v_cmp_le_u32_e32 vcc, s18, v7
	v_cndmask_b32_e64 v7, 0, -1, vcc
	v_cmp_eq_u32_e32 vcc, s19, v8
	v_cndmask_b32_e32 v7, v12, v7, vcc
	v_cmp_ne_u32_e32 vcc, 0, v7
	v_cndmask_b32_e64 v7, v13, v11, s[0:1]
	v_cndmask_b32_e32 v8, v9, v10, vcc
	v_cndmask_b32_e32 v7, v4, v7, vcc
.LBB0_4:                                ;   in Loop: Header=BB0_2 Depth=1
	s_andn2_saveexec_b64 s[0:1], s[20:21]
	s_cbranch_execz .LBB0_6
; %bb.5:                                ;   in Loop: Header=BB0_2 Depth=1
	v_cvt_f32_u32_e32 v4, s18
	s_sub_i32 s20, 0, s18
	v_rcp_iflag_f32_e32 v4, v4
	v_mul_f32_e32 v4, 0x4f7ffffe, v4
	v_cvt_u32_f32_e32 v4, v4
	v_mul_lo_u32 v7, s20, v4
	v_mul_hi_u32 v7, v4, v7
	v_add_u32_e32 v4, v4, v7
	v_mul_hi_u32 v4, v5, v4
	v_mul_lo_u32 v7, v4, s18
	v_add_u32_e32 v8, 1, v4
	v_sub_u32_e32 v7, v5, v7
	v_subrev_u32_e32 v9, s18, v7
	v_cmp_le_u32_e32 vcc, s18, v7
	v_cndmask_b32_e32 v7, v7, v9, vcc
	v_cndmask_b32_e32 v4, v4, v8, vcc
	v_add_u32_e32 v8, 1, v4
	v_cmp_le_u32_e32 vcc, s18, v7
	v_cndmask_b32_e32 v7, v4, v8, vcc
	v_mov_b32_e32 v8, v3
.LBB0_6:                                ;   in Loop: Header=BB0_2 Depth=1
	s_or_b64 exec, exec, s[0:1]
	v_mul_lo_u32 v4, v8, s18
	v_mul_lo_u32 v11, v7, s19
	v_mad_u64_u32 v[9:10], s[0:1], v7, s18, 0
	s_load_dwordx2 s[0:1], s[6:7], 0x0
	s_add_u32 s16, s16, 1
	v_add3_u32 v4, v10, v11, v4
	v_sub_co_u32_e32 v5, vcc, v5, v9
	v_subb_co_u32_e32 v4, vcc, v6, v4, vcc
	s_waitcnt lgkmcnt(0)
	v_mul_lo_u32 v4, s0, v4
	v_mul_lo_u32 v6, s1, v5
	v_mad_u64_u32 v[1:2], s[0:1], s0, v5, v[1:2]
	s_addc_u32 s17, s17, 0
	s_add_u32 s6, s6, 8
	v_add3_u32 v2, v6, v2, v4
	v_mov_b32_e32 v4, s10
	v_mov_b32_e32 v5, s11
	s_addc_u32 s7, s7, 0
	v_cmp_ge_u64_e32 vcc, s[16:17], v[4:5]
	s_add_u32 s14, s14, 8
	s_addc_u32 s15, s15, 0
	s_cbranch_vccnz .LBB0_9
; %bb.7:                                ;   in Loop: Header=BB0_2 Depth=1
	v_mov_b32_e32 v5, v7
	v_mov_b32_e32 v6, v8
	s_branch .LBB0_2
.LBB0_8:
	v_mov_b32_e32 v8, v6
	v_mov_b32_e32 v7, v5
.LBB0_9:
	s_lshl_b64 s[0:1], s[10:11], 3
	s_add_u32 s0, s12, s0
	s_addc_u32 s1, s13, s1
	s_load_dwordx2 s[6:7], s[0:1], 0x0
	s_load_dwordx2 s[10:11], s[4:5], 0x20
                                        ; implicit-def: $vgpr6
	s_waitcnt lgkmcnt(0)
	v_mad_u64_u32 v[1:2], s[0:1], s6, v7, v[1:2]
	s_mov_b32 s0, 0x1111112
	v_mul_lo_u32 v3, s6, v8
	v_mul_lo_u32 v4, s7, v7
	v_mul_hi_u32 v5, v0, s0
	v_cmp_gt_u64_e64 s[0:1], s[10:11], v[7:8]
	v_cmp_le_u64_e32 vcc, s[10:11], v[7:8]
	v_add3_u32 v2, v4, v2, v3
	v_mul_u32_u24_e32 v3, 0xf0, v5
	v_sub_u32_e32 v0, v0, v3
                                        ; implicit-def: $vgpr4
	s_and_saveexec_b64 s[4:5], vcc
	s_xor_b64 s[4:5], exec, s[4:5]
; %bb.10:
	v_add_u32_e32 v4, 0xf0, v0
	v_add_u32_e32 v6, 0x1e0, v0
; %bb.11:
	s_or_saveexec_b64 s[4:5], s[4:5]
	v_lshlrev_b64 v[2:3], 3, v[1:2]
	v_lshl_add_u32 v31, v0, 3, 0
	s_xor_b64 exec, exec, s[4:5]
	s_cbranch_execz .LBB0_13
; %bb.12:
	v_mov_b32_e32 v1, 0
	v_mov_b32_e32 v4, s3
	v_add_co_u32_e32 v6, vcc, s2, v2
	v_addc_co_u32_e32 v7, vcc, v4, v3, vcc
	v_lshlrev_b64 v[4:5], 3, v[0:1]
	s_movk_i32 s6, 0x1000
	v_add_co_u32_e32 v4, vcc, v6, v4
	v_addc_co_u32_e32 v5, vcc, v7, v5, vcc
	v_add_co_u32_e32 v6, vcc, s6, v4
	v_addc_co_u32_e32 v7, vcc, 0, v5, vcc
	s_movk_i32 s6, 0x2000
	v_add_co_u32_e32 v16, vcc, s6, v4
	v_addc_co_u32_e32 v17, vcc, 0, v5, vcc
	v_add_co_u32_e32 v18, vcc, 0x3000, v4
	v_addc_co_u32_e32 v19, vcc, 0, v5, vcc
	global_load_dwordx2 v[8:9], v[4:5], off
	global_load_dwordx2 v[10:11], v[4:5], off offset:1920
	global_load_dwordx2 v[12:13], v[4:5], off offset:3840
	;; [unrolled: 1-line block ×3, first 2 shown]
	v_add_co_u32_e32 v4, vcc, 0x4000, v4
	global_load_dwordx2 v[20:21], v[6:7], off offset:3584
	global_load_dwordx2 v[22:23], v[16:17], off offset:1408
	global_load_dwordx2 v[24:25], v[16:17], off offset:3328
	global_load_dwordx2 v[26:27], v[18:19], off offset:1152
	v_addc_co_u32_e32 v5, vcc, 0, v5, vcc
	global_load_dwordx2 v[16:17], v[18:19], off offset:3072
	global_load_dwordx2 v[28:29], v[4:5], off offset:896
	v_add_u32_e32 v1, 0xf00, v31
	v_add_u32_e32 v4, 0xf0, v0
	;; [unrolled: 1-line block ×5, first 2 shown]
	s_waitcnt vmcnt(8)
	ds_write2_b64 v31, v[8:9], v[10:11] offset1:240
	s_waitcnt vmcnt(6)
	ds_write2_b64 v1, v[12:13], v[14:15] offset1:240
	;; [unrolled: 2-line block ×4, first 2 shown]
	v_add_u32_e32 v1, 0x3c00, v31
	s_waitcnt vmcnt(0)
	ds_write2_b64 v1, v[16:17], v[28:29] offset1:240
.LBB0_13:
	s_or_b64 exec, exec, s[4:5]
	v_add_u32_e32 v5, 0x2580, v31
	v_add_u32_e32 v1, 0xc00, v31
	;; [unrolled: 1-line block ×3, first 2 shown]
	s_waitcnt lgkmcnt(0)
	s_barrier
	ds_read2_b64 v[7:10], v31 offset1:240
	ds_read2_b64 v[11:14], v5 offset1:240
	ds_read2_b64 v[15:18], v1 offset0:96 offset1:216
	ds_read2_b64 v[19:22], v19 offset0:16 offset1:136
	v_add_u32_e32 v25, 0x3f80, v31
	s_movk_i32 s4, 0x78
	v_cmp_gt_u32_e32 vcc, s4, v0
	s_waitcnt lgkmcnt(2)
	v_sub_f32_e32 v1, v7, v11
	s_waitcnt lgkmcnt(0)
	v_sub_f32_e32 v21, v17, v21
	v_sub_f32_e32 v22, v18, v22
	;; [unrolled: 1-line block ×3, first 2 shown]
	v_fma_f32 v11, v7, 2.0, -v1
	v_fma_f32 v7, v17, 2.0, -v21
	v_sub_f32_e32 v17, v1, v22
	v_fma_f32 v12, v8, 2.0, -v23
	v_fma_f32 v8, v18, 2.0, -v22
	v_add_f32_e32 v18, v23, v21
	v_fma_f32 v29, v1, 2.0, -v17
	v_add_u32_e32 v1, 0x1a00, v31
	v_fma_f32 v30, v23, 2.0, -v18
	ds_read2_b64 v[21:24], v1 offset0:8 offset1:248
	ds_read2_b64 v[25:28], v25 offset0:8 offset1:248
	v_sub_f32_e32 v7, v11, v7
	v_sub_f32_e32 v8, v12, v8
	v_fma_f32 v11, v11, 2.0, -v7
	v_fma_f32 v12, v12, 2.0, -v8
	v_mad_u32_u24 v1, v0, 24, v31
	s_waitcnt lgkmcnt(0)
	s_barrier
	ds_write2_b64 v1, v[11:12], v[29:30] offset1:1
	ds_write2_b64 v1, v[7:8], v[17:18] offset0:2 offset1:3
	v_sub_f32_e32 v1, v9, v13
	v_sub_f32_e32 v11, v10, v14
	v_fma_f32 v7, v9, 2.0, -v1
	v_fma_f32 v8, v10, 2.0, -v11
	v_sub_f32_e32 v9, v21, v25
	v_sub_f32_e32 v10, v22, v26
	v_fma_f32 v12, v21, 2.0, -v9
	v_fma_f32 v13, v22, 2.0, -v10
	v_sub_f32_e32 v17, v7, v12
	v_sub_f32_e32 v18, v8, v13
	;; [unrolled: 1-line block ×3, first 2 shown]
	v_add_f32_e32 v22, v11, v9
	v_fma_f32 v7, v7, 2.0, -v17
	v_fma_f32 v8, v8, 2.0, -v18
	;; [unrolled: 1-line block ×4, first 2 shown]
	v_lshl_add_u32 v1, v4, 5, 0
	ds_write2_b64 v1, v[7:8], v[9:10] offset1:1
	v_sub_f32_e32 v11, v15, v19
	v_sub_f32_e32 v13, v16, v20
	;; [unrolled: 1-line block ×4, first 2 shown]
	v_fma_f32 v12, v15, 2.0, -v11
	v_fma_f32 v14, v16, 2.0, -v13
	;; [unrolled: 1-line block ×4, first 2 shown]
	v_sub_f32_e32 v7, v12, v7
	v_sub_f32_e32 v8, v14, v8
	;; [unrolled: 1-line block ×3, first 2 shown]
	v_add_f32_e32 v10, v13, v10
	ds_write2_b64 v1, v[17:18], v[21:22] offset0:2 offset1:3
	s_and_saveexec_b64 s[4:5], vcc
	s_cbranch_execz .LBB0_15
; %bb.14:
	v_fma_f32 v16, v13, 2.0, -v10
	v_fma_f32 v15, v11, 2.0, -v9
	;; [unrolled: 1-line block ×4, first 2 shown]
	v_lshl_add_u32 v11, v6, 5, 0
	ds_write2_b64 v11, v[12:13], v[15:16] offset1:1
	ds_write2_b64 v11, v[7:8], v[9:10] offset0:2 offset1:3
.LBB0_15:
	s_or_b64 exec, exec, s[4:5]
	v_and_b32_e32 v14, 3, v0
	v_mul_u32_u24_e32 v11, 9, v14
	v_lshlrev_b32_e32 v11, 3, v11
	s_waitcnt lgkmcnt(0)
	s_barrier
	global_load_dwordx4 v[15:18], v11, s[8:9] offset:16
	global_load_dwordx4 v[19:22], v11, s[8:9] offset:32
	;; [unrolled: 1-line block ×3, first 2 shown]
	global_load_dwordx4 v[27:30], v11, s[8:9]
	global_load_dwordx2 v[41:42], v11, s[8:9] offset:64
	v_add_u32_e32 v13, 0x1680, v31
	ds_read2_b64 v[33:36], v13 offset1:240
	ds_read2_b64 v[37:40], v5 offset1:240
	v_add_u32_e32 v12, 0x3480, v31
	s_movk_i32 s4, 0xffe8
	v_lshl_add_u32 v32, v6, 3, 0
	s_mov_b32 s7, 0x3f737871
	s_mov_b32 s5, 0x3f167918
	;; [unrolled: 1-line block ×3, first 2 shown]
	s_movk_i32 s10, 0xcd
	s_waitcnt vmcnt(4) lgkmcnt(1)
	v_mul_f32_e32 v11, v16, v34
	v_mul_f32_e32 v43, v16, v33
	;; [unrolled: 1-line block ×4, first 2 shown]
	v_fma_f32 v33, v15, v33, -v11
	v_fmac_f32_e32 v43, v15, v34
	v_fma_f32 v34, v17, v35, -v16
	v_fmac_f32_e32 v44, v17, v36
	ds_read2_b64 v[15:18], v12 offset1:240
	v_mad_i32_i24 v11, v4, s4, v1
	s_waitcnt vmcnt(3) lgkmcnt(1)
	v_mul_f32_e32 v35, v20, v38
	v_mul_f32_e32 v36, v20, v37
	;; [unrolled: 1-line block ×4, first 2 shown]
	v_fma_f32 v35, v19, v37, -v35
	v_fmac_f32_e32 v36, v19, v38
	v_fma_f32 v37, v39, v21, -v20
	v_fmac_f32_e32 v45, v40, v21
	ds_read_b64 v[19:20], v11
	ds_read_b64 v[21:22], v32
	s_waitcnt vmcnt(2) lgkmcnt(2)
	v_mul_f32_e32 v38, v16, v24
	v_mul_f32_e32 v24, v15, v24
	;; [unrolled: 1-line block ×4, first 2 shown]
	v_fma_f32 v38, v15, v23, -v38
	v_fmac_f32_e32 v24, v16, v23
	v_fma_f32 v23, v17, v25, -v39
	v_fmac_f32_e32 v26, v18, v25
	ds_read_b64 v[15:16], v31 offset:17280
	ds_read_b64 v[17:18], v31
	s_waitcnt vmcnt(1) lgkmcnt(3)
	v_mul_f32_e32 v25, v28, v20
	v_mul_f32_e32 v28, v28, v19
	s_waitcnt lgkmcnt(2)
	v_mul_f32_e32 v39, v30, v22
	v_mul_f32_e32 v30, v30, v21
	v_fma_f32 v19, v27, v19, -v25
	v_fmac_f32_e32 v28, v27, v20
	s_waitcnt vmcnt(0) lgkmcnt(1)
	v_mul_f32_e32 v20, v16, v42
	v_mul_f32_e32 v25, v15, v42
	v_fma_f32 v21, v29, v21, -v39
	v_fma_f32 v15, v15, v41, -v20
	v_fmac_f32_e32 v25, v16, v41
	v_add_f32_e32 v39, v34, v37
	v_add_f32_e32 v41, v21, v23
	v_fmac_f32_e32 v30, v29, v22
	v_sub_f32_e32 v16, v21, v34
	v_sub_f32_e32 v20, v23, v37
	v_sub_f32_e32 v22, v34, v21
	v_sub_f32_e32 v27, v37, v23
	s_waitcnt lgkmcnt(0)
	v_add_f32_e32 v29, v17, v21
	v_fma_f32 v39, -0.5, v39, v17
	v_fma_f32 v17, -0.5, v41, v17
	v_sub_f32_e32 v42, v30, v26
	v_sub_f32_e32 v46, v44, v45
	v_add_f32_e32 v16, v16, v20
	v_add_f32_e32 v20, v22, v27
	;; [unrolled: 1-line block ×3, first 2 shown]
	v_mov_b32_e32 v27, v39
	v_mov_b32_e32 v29, v17
	v_fmac_f32_e32 v39, 0xbf737871, v42
	v_fmac_f32_e32 v17, 0x3f737871, v46
	;; [unrolled: 1-line block ×12, first 2 shown]
	v_sub_f32_e32 v16, v30, v44
	v_sub_f32_e32 v20, v26, v45
	v_add_f32_e32 v16, v16, v20
	v_add_f32_e32 v20, v44, v45
	v_sub_f32_e32 v40, v34, v37
	v_add_f32_e32 v22, v22, v37
	v_fma_f32 v37, -0.5, v20, v18
	v_sub_f32_e32 v21, v21, v23
	v_mov_b32_e32 v34, v37
	v_fmac_f32_e32 v34, 0xbf737871, v21
	v_fmac_f32_e32 v37, 0x3f737871, v21
	;; [unrolled: 1-line block ×6, first 2 shown]
	v_add_f32_e32 v16, v18, v30
	v_add_f32_e32 v20, v30, v26
	v_fmac_f32_e32 v18, -0.5, v20
	v_add_f32_e32 v16, v16, v44
	v_sub_f32_e32 v20, v44, v30
	v_add_f32_e32 v16, v16, v45
	v_mov_b32_e32 v30, v18
	v_add_f32_e32 v22, v22, v23
	v_add_f32_e32 v23, v16, v26
	v_sub_f32_e32 v16, v45, v26
	v_fmac_f32_e32 v30, 0x3f737871, v40
	v_fmac_f32_e32 v18, 0xbf737871, v40
	v_add_f32_e32 v16, v20, v16
	v_fmac_f32_e32 v30, 0xbf167918, v21
	v_fmac_f32_e32 v18, 0x3f167918, v21
	;; [unrolled: 1-line block ×4, first 2 shown]
	v_sub_f32_e32 v16, v33, v35
	v_sub_f32_e32 v20, v15, v38
	v_add_f32_e32 v16, v16, v20
	v_add_f32_e32 v20, v35, v38
	v_fma_f32 v40, -0.5, v20, v19
	v_sub_f32_e32 v20, v43, v25
	v_mov_b32_e32 v26, v40
	v_fmac_f32_e32 v26, 0x3f737871, v20
	v_sub_f32_e32 v21, v36, v24
	v_fmac_f32_e32 v40, 0xbf737871, v20
	v_fmac_f32_e32 v26, 0x3f167918, v21
	;; [unrolled: 1-line block ×3, first 2 shown]
	v_add_f32_e32 v41, v33, v15
	v_fmac_f32_e32 v26, 0x3e9e377a, v16
	v_fmac_f32_e32 v40, 0x3e9e377a, v16
	v_add_f32_e32 v16, v19, v33
	v_fmac_f32_e32 v19, -0.5, v41
	v_sub_f32_e32 v41, v35, v33
	v_sub_f32_e32 v42, v38, v15
	v_add_f32_e32 v41, v41, v42
	v_mov_b32_e32 v42, v19
	v_add_f32_e32 v16, v16, v35
	v_fmac_f32_e32 v42, 0xbf737871, v21
	v_fmac_f32_e32 v19, 0x3f737871, v21
	v_add_f32_e32 v16, v16, v38
	v_fmac_f32_e32 v42, 0x3f167918, v20
	v_fmac_f32_e32 v19, 0xbf167918, v20
	v_add_f32_e32 v21, v16, v15
	v_sub_f32_e32 v15, v33, v15
	v_sub_f32_e32 v20, v43, v36
	v_sub_f32_e32 v33, v25, v24
	v_add_f32_e32 v20, v20, v33
	v_add_f32_e32 v33, v36, v24
	v_sub_f32_e32 v16, v35, v38
	v_fma_f32 v35, -0.5, v33, v28
	v_mov_b32_e32 v33, v35
	v_fmac_f32_e32 v33, 0xbf737871, v15
	v_fmac_f32_e32 v35, 0x3f737871, v15
	;; [unrolled: 1-line block ×6, first 2 shown]
	v_add_f32_e32 v20, v28, v43
	v_add_f32_e32 v20, v20, v36
	;; [unrolled: 1-line block ×4, first 2 shown]
	v_fmac_f32_e32 v28, -0.5, v38
	v_sub_f32_e32 v36, v36, v43
	v_add_f32_e32 v38, v20, v25
	v_sub_f32_e32 v20, v24, v25
	v_add_f32_e32 v20, v36, v20
	v_mov_b32_e32 v36, v28
	v_mul_f32_e32 v25, 0x3f167918, v33
	v_fmac_f32_e32 v36, 0x3f737871, v16
	v_fmac_f32_e32 v28, 0xbf737871, v16
	v_fmac_f32_e32 v25, 0x3f4f1bbd, v26
	v_mul_f32_e32 v26, 0xbf167918, v26
	v_fmac_f32_e32 v42, 0x3e9e377a, v41
	v_fmac_f32_e32 v19, 0x3e9e377a, v41
	;; [unrolled: 1-line block ×7, first 2 shown]
	v_mul_f32_e32 v15, 0x3e9e377a, v19
	v_add_f32_e32 v24, v34, v26
	v_sub_f32_e32 v26, v34, v26
	v_mul_f32_e32 v34, 0xbf737871, v42
	v_fma_f32 v20, v28, s7, -v15
	v_mul_f32_e32 v15, 0x3e9e377a, v28
	v_fmac_f32_e32 v34, 0x3e9e377a, v36
	v_mul_f32_e32 v28, 0x3f4f1bbd, v40
	s_mov_b32 s4, 0xbf167918
	v_fma_f32 v19, v19, s6, -v15
	v_mul_f32_e32 v33, 0x3f737871, v36
	v_fma_f32 v36, v35, s5, -v28
	v_add_f32_e32 v28, v30, v34
	v_sub_f32_e32 v30, v30, v34
	v_mul_f32_e32 v34, 0x3f4f1bbd, v35
	v_add_f32_e32 v15, v17, v20
	v_add_f32_e32 v16, v18, v19
	v_sub_f32_e32 v17, v17, v20
	v_sub_f32_e32 v18, v18, v19
	v_add_f32_e32 v19, v22, v21
	v_add_f32_e32 v20, v23, v38
	v_sub_f32_e32 v21, v22, v21
	v_sub_f32_e32 v22, v23, v38
	v_fmac_f32_e32 v33, 0x3e9e377a, v42
	v_fma_f32 v38, v40, s4, -v34
	v_add_f32_e32 v23, v27, v25
	v_sub_f32_e32 v25, v27, v25
	v_add_f32_e32 v27, v29, v33
	v_sub_f32_e32 v29, v29, v33
	v_add_f32_e32 v33, v39, v36
	v_add_f32_e32 v34, v37, v38
	v_sub_f32_e32 v35, v39, v36
	v_sub_f32_e32 v36, v37, v38
	v_lshrrev_b32_e32 v37, 2, v0
	v_mul_u32_u24_e32 v37, 40, v37
	v_or_b32_e32 v14, v37, v14
	v_lshl_add_u32 v14, v14, 3, 0
	s_barrier
	ds_write2_b64 v14, v[19:20], v[23:24] offset1:4
	ds_write2_b64 v14, v[27:28], v[15:16] offset0:8 offset1:12
	ds_write2_b64 v14, v[33:34], v[21:22] offset0:16 offset1:20
	;; [unrolled: 1-line block ×4, first 2 shown]
	v_mul_lo_u16_sdwa v14, v0, s10 dst_sel:DWORD dst_unused:UNUSED_PAD src0_sel:BYTE_0 src1_sel:DWORD
	v_lshrrev_b16_e32 v20, 13, v14
	v_mul_lo_u16_e32 v14, 40, v20
	v_sub_u16_e32 v19, v0, v14
	v_mov_b32_e32 v14, 9
	v_mul_u32_u24_sdwa v14, v19, v14 dst_sel:DWORD dst_unused:UNUSED_PAD src0_sel:BYTE_0 src1_sel:DWORD
	v_lshlrev_b32_e32 v18, 3, v14
	s_waitcnt lgkmcnt(0)
	s_barrier
	global_load_dwordx4 v[14:17], v18, s[8:9] offset:304
	global_load_dwordx4 v[21:24], v18, s[8:9] offset:320
	;; [unrolled: 1-line block ×4, first 2 shown]
	global_load_dwordx2 v[29:30], v18, s[8:9] offset:352
	ds_read2_b64 v[37:40], v13 offset1:240
	ds_read2_b64 v[41:44], v5 offset1:240
	s_waitcnt vmcnt(4) lgkmcnt(1)
	v_mul_f32_e32 v13, v15, v38
	v_fma_f32 v18, v14, v37, -v13
	v_mul_f32_e32 v37, v15, v37
	v_mul_f32_e32 v13, v17, v40
	v_fmac_f32_e32 v37, v14, v38
	v_fma_f32 v5, v16, v39, -v13
	ds_read2_b64 v[12:15], v12 offset1:240
	v_mul_f32_e32 v17, v17, v39
	v_fmac_f32_e32 v17, v16, v40
	s_waitcnt vmcnt(3) lgkmcnt(1)
	v_mul_f32_e32 v16, v22, v42
	v_fma_f32 v38, v21, v41, -v16
	v_mul_f32_e32 v22, v22, v41
	v_mul_f32_e32 v16, v44, v24
	v_fmac_f32_e32 v22, v21, v42
	v_fma_f32 v21, v43, v23, -v16
	v_mul_f32_e32 v24, v43, v24
	s_waitcnt vmcnt(2) lgkmcnt(0)
	v_mul_f32_e32 v16, v13, v26
	v_fmac_f32_e32 v24, v44, v23
	v_fma_f32 v23, v12, v25, -v16
	v_mul_f32_e32 v26, v12, v26
	ds_read_b64 v[11:12], v11
	v_fmac_f32_e32 v26, v13, v25
	v_mul_f32_e32 v13, v15, v28
	v_fma_f32 v25, v14, v27, -v13
	v_mul_f32_e32 v28, v14, v28
	ds_read_b64 v[13:14], v32
	v_fmac_f32_e32 v28, v15, v27
	s_waitcnt vmcnt(1) lgkmcnt(1)
	v_mul_f32_e32 v15, v34, v12
	v_mul_f32_e32 v34, v34, v11
	v_fma_f32 v39, v33, v11, -v15
	v_fmac_f32_e32 v34, v33, v12
	ds_read_b64 v[11:12], v31 offset:17280
	s_waitcnt lgkmcnt(1)
	v_mul_f32_e32 v15, v36, v14
	v_fma_f32 v27, v35, v13, -v15
	ds_read_b64 v[15:16], v31
	v_mul_f32_e32 v13, v36, v13
	v_fmac_f32_e32 v13, v35, v14
	s_waitcnt vmcnt(0) lgkmcnt(1)
	v_mul_f32_e32 v14, v12, v30
	v_fma_f32 v14, v11, v29, -v14
	v_mul_f32_e32 v11, v11, v30
	v_fmac_f32_e32 v11, v12, v29
	v_add_f32_e32 v12, v5, v21
	s_waitcnt lgkmcnt(0)
	v_fma_f32 v35, -0.5, v12, v15
	v_sub_f32_e32 v12, v13, v28
	v_mov_b32_e32 v29, v35
	v_fmac_f32_e32 v29, 0x3f737871, v12
	v_sub_f32_e32 v30, v17, v24
	v_sub_f32_e32 v33, v27, v5
	;; [unrolled: 1-line block ×3, first 2 shown]
	v_fmac_f32_e32 v35, 0xbf737871, v12
	v_fmac_f32_e32 v29, 0x3f167918, v30
	v_add_f32_e32 v33, v33, v36
	v_fmac_f32_e32 v35, 0xbf167918, v30
	v_fmac_f32_e32 v29, 0x3e9e377a, v33
	;; [unrolled: 1-line block ×3, first 2 shown]
	v_sub_f32_e32 v33, v5, v27
	v_sub_f32_e32 v36, v21, v25
	v_add_f32_e32 v33, v33, v36
	v_add_f32_e32 v36, v27, v25
	v_fma_f32 v36, -0.5, v36, v15
	v_mov_b32_e32 v40, v36
	v_fmac_f32_e32 v40, 0xbf737871, v30
	v_fmac_f32_e32 v36, 0x3f737871, v30
	;; [unrolled: 1-line block ×4, first 2 shown]
	v_add_f32_e32 v12, v15, v27
	v_add_f32_e32 v15, v17, v24
	;; [unrolled: 1-line block ×3, first 2 shown]
	v_fma_f32 v41, -0.5, v15, v16
	v_add_f32_e32 v12, v12, v21
	v_sub_f32_e32 v15, v27, v25
	v_mov_b32_e32 v30, v41
	v_add_f32_e32 v12, v12, v25
	v_sub_f32_e32 v5, v5, v21
	v_sub_f32_e32 v21, v13, v17
	;; [unrolled: 1-line block ×3, first 2 shown]
	v_fmac_f32_e32 v30, 0xbf737871, v15
	v_fmac_f32_e32 v41, 0x3f737871, v15
	v_add_f32_e32 v21, v21, v25
	v_fmac_f32_e32 v30, 0xbf167918, v5
	v_fmac_f32_e32 v41, 0x3f167918, v5
	;; [unrolled: 1-line block ×4, first 2 shown]
	v_add_f32_e32 v21, v16, v13
	v_add_f32_e32 v25, v13, v28
	v_fmac_f32_e32 v16, -0.5, v25
	v_add_f32_e32 v21, v21, v17
	v_add_f32_e32 v21, v21, v24
	v_sub_f32_e32 v13, v17, v13
	v_mov_b32_e32 v17, v16
	v_add_f32_e32 v27, v21, v28
	v_fmac_f32_e32 v17, 0x3f737871, v5
	v_sub_f32_e32 v21, v24, v28
	v_fmac_f32_e32 v16, 0xbf737871, v5
	v_add_f32_e32 v5, v38, v23
	v_fmac_f32_e32 v17, 0xbf167918, v15
	v_add_f32_e32 v13, v13, v21
	v_fmac_f32_e32 v16, 0x3f167918, v15
	v_fma_f32 v5, -0.5, v5, v39
	v_fmac_f32_e32 v17, 0x3e9e377a, v13
	v_fmac_f32_e32 v16, 0x3e9e377a, v13
	v_sub_f32_e32 v13, v37, v11
	v_mov_b32_e32 v15, v5
	v_sub_f32_e32 v21, v18, v38
	v_sub_f32_e32 v24, v14, v23
	v_fmac_f32_e32 v15, 0x3f737871, v13
	v_add_f32_e32 v21, v21, v24
	v_sub_f32_e32 v24, v22, v26
	v_fmac_f32_e32 v5, 0xbf737871, v13
	v_fmac_f32_e32 v15, 0x3f167918, v24
	;; [unrolled: 1-line block ×3, first 2 shown]
	v_add_f32_e32 v25, v18, v14
	v_fmac_f32_e32 v15, 0x3e9e377a, v21
	v_fmac_f32_e32 v5, 0x3e9e377a, v21
	v_add_f32_e32 v21, v39, v18
	v_fmac_f32_e32 v39, -0.5, v25
	v_sub_f32_e32 v25, v38, v18
	v_sub_f32_e32 v28, v23, v14
	v_add_f32_e32 v25, v25, v28
	v_mov_b32_e32 v28, v39
	v_fmac_f32_e32 v28, 0xbf737871, v24
	v_fmac_f32_e32 v39, 0x3f737871, v24
	;; [unrolled: 1-line block ×4, first 2 shown]
	v_add_f32_e32 v13, v21, v38
	v_add_f32_e32 v21, v22, v26
	v_add_f32_e32 v13, v13, v23
	v_fma_f32 v42, -0.5, v21, v34
	v_add_f32_e32 v13, v13, v14
	v_sub_f32_e32 v14, v18, v14
	v_mov_b32_e32 v24, v42
	v_sub_f32_e32 v18, v38, v23
	v_sub_f32_e32 v21, v37, v22
	;; [unrolled: 1-line block ×3, first 2 shown]
	v_fmac_f32_e32 v24, 0xbf737871, v14
	v_fmac_f32_e32 v42, 0x3f737871, v14
	v_add_f32_e32 v21, v21, v23
	v_fmac_f32_e32 v24, 0xbf167918, v18
	v_fmac_f32_e32 v42, 0x3f167918, v18
	;; [unrolled: 1-line block ×4, first 2 shown]
	v_add_f32_e32 v21, v34, v37
	v_add_f32_e32 v23, v37, v11
	v_add_f32_e32 v21, v21, v22
	v_fmac_f32_e32 v34, -0.5, v23
	v_add_f32_e32 v21, v21, v26
	v_fmac_f32_e32 v40, 0x3e9e377a, v33
	v_fmac_f32_e32 v36, 0x3e9e377a, v33
	v_add_f32_e32 v33, v21, v11
	v_sub_f32_e32 v21, v22, v37
	v_mov_b32_e32 v37, v34
	v_fmac_f32_e32 v37, 0x3f737871, v18
	v_sub_f32_e32 v11, v26, v11
	v_fmac_f32_e32 v34, 0xbf737871, v18
	v_fmac_f32_e32 v37, 0xbf167918, v14
	v_add_f32_e32 v11, v21, v11
	v_fmac_f32_e32 v34, 0x3f167918, v14
	v_fmac_f32_e32 v37, 0x3e9e377a, v11
	;; [unrolled: 1-line block ×3, first 2 shown]
	v_mul_f32_e32 v11, 0x3f167918, v24
	v_fmac_f32_e32 v28, 0x3e9e377a, v25
	v_fmac_f32_e32 v39, 0x3e9e377a, v25
	v_add_f32_e32 v21, v12, v13
	v_fmac_f32_e32 v11, 0x3f4f1bbd, v15
	v_mul_f32_e32 v14, 0xbf167918, v15
	v_mul_f32_e32 v15, 0x3f737871, v37
	v_sub_f32_e32 v25, v12, v13
	v_mul_f32_e32 v13, 0x3e9e377a, v34
	v_fmac_f32_e32 v15, 0x3e9e377a, v28
	v_fma_f32 v38, v39, s6, -v13
	v_mul_f32_e32 v13, 0x3f4f1bbd, v5
	v_add_f32_e32 v22, v27, v33
	v_sub_f32_e32 v26, v27, v33
	v_add_f32_e32 v27, v40, v15
	v_mul_f32_e32 v18, 0xbf737871, v28
	v_mul_f32_e32 v12, 0x3e9e377a, v39
	v_fma_f32 v39, v42, s5, -v13
	v_sub_f32_e32 v13, v40, v15
	v_mul_f32_e32 v15, 0x3f4f1bbd, v42
	v_fmac_f32_e32 v14, 0x3f4f1bbd, v24
	v_fmac_f32_e32 v18, 0x3e9e377a, v37
	v_fma_f32 v5, v5, s4, -v15
	v_fma_f32 v37, v34, s7, -v12
	v_add_f32_e32 v24, v30, v14
	v_sub_f32_e32 v12, v30, v14
	v_add_f32_e32 v28, v17, v18
	v_sub_f32_e32 v14, v17, v18
	v_add_f32_e32 v30, v16, v38
	v_add_f32_e32 v34, v41, v5
	v_sub_f32_e32 v18, v16, v38
	v_sub_f32_e32 v16, v41, v5
	v_mul_u32_u24_e32 v5, 0xc80, v20
	v_mov_b32_e32 v20, 3
	v_lshlrev_b32_sdwa v19, v20, v19 dst_sel:DWORD dst_unused:UNUSED_PAD src0_sel:DWORD src1_sel:BYTE_0
	v_add_f32_e32 v23, v29, v11
	v_add3_u32 v5, 0, v5, v19
	v_sub_f32_e32 v11, v29, v11
	v_add_f32_e32 v29, v36, v37
	v_add_f32_e32 v33, v35, v39
	v_sub_f32_e32 v17, v36, v37
	v_sub_f32_e32 v15, v35, v39
	s_barrier
	ds_write2_b64 v5, v[21:22], v[23:24] offset1:40
	ds_write2_b64 v5, v[27:28], v[29:30] offset0:80 offset1:120
	ds_write2_b64 v5, v[33:34], v[25:26] offset0:160 offset1:200
	v_add_u32_e32 v19, 0x400, v5
	v_add_u32_e32 v5, 0x800, v5
	ds_write2_b64 v19, v[11:12], v[13:14] offset0:112 offset1:152
	ds_write2_b64 v5, v[17:18], v[15:16] offset0:64 offset1:104
	s_waitcnt lgkmcnt(0)
	s_barrier
	ds_read_b64 v[19:20], v31
	ds_read_b64 v[29:30], v31 offset:3200
	ds_read_b64 v[27:28], v31 offset:6400
	;; [unrolled: 1-line block ×5, first 2 shown]
	v_mul_i32_i24_e32 v5, 0xffffffe8, v4
	s_movk_i32 s4, 0xa0
	v_cmp_gt_u32_e32 vcc, s4, v0
	v_add_u32_e32 v33, v1, v5
	s_and_saveexec_b64 s[4:5], vcc
	s_cbranch_execz .LBB0_17
; %bb.16:
	ds_read_b64 v[11:12], v33
	ds_read_b64 v[13:14], v31 offset:5120
	ds_read_b64 v[17:18], v31 offset:8320
	;; [unrolled: 1-line block ×5, first 2 shown]
.LBB0_17:
	s_or_b64 exec, exec, s[4:5]
	v_mul_u32_u24_e32 v1, 5, v0
	v_lshlrev_b32_e32 v1, 3, v1
	global_load_dwordx4 v[34:37], v1, s[8:9] offset:3168
	global_load_dwordx4 v[38:41], v1, s[8:9] offset:3184
	global_load_dwordx2 v[42:43], v1, s[8:9] offset:3200
	s_waitcnt vmcnt(0) lgkmcnt(0)
	s_barrier
	v_mul_f32_e32 v1, v35, v30
	v_mul_f32_e32 v5, v35, v29
	;; [unrolled: 1-line block ×10, first 2 shown]
	v_fma_f32 v27, v36, v27, -v35
	v_fmac_f32_e32 v37, v36, v28
	v_fma_f32 v25, v38, v25, -v44
	v_fmac_f32_e32 v39, v38, v26
	;; [unrolled: 2-line block ×5, first 2 shown]
	v_add_f32_e32 v24, v27, v23
	v_sub_f32_e32 v26, v37, v41
	v_add_f32_e32 v28, v20, v37
	v_add_f32_e32 v29, v37, v41
	;; [unrolled: 1-line block ×6, first 2 shown]
	v_sub_f32_e32 v35, v39, v43
	v_add_f32_e32 v36, v5, v39
	v_sub_f32_e32 v25, v25, v21
	v_fma_f32 v19, -0.5, v24, v19
	v_fmac_f32_e32 v1, -0.5, v34
	v_fmac_f32_e32 v5, -0.5, v37
	v_add_f32_e32 v24, v28, v41
	v_fmac_f32_e32 v20, -0.5, v29
	v_add_f32_e32 v28, v30, v21
	v_add_f32_e32 v29, v36, v43
	v_mov_b32_e32 v30, v19
	v_mov_b32_e32 v36, v1
	v_fmac_f32_e32 v1, 0xbf5db3d7, v35
	v_mov_b32_e32 v37, v5
	v_fmac_f32_e32 v5, 0x3f5db3d7, v25
	v_sub_f32_e32 v27, v27, v23
	v_add_f32_e32 v23, v22, v23
	v_fmac_f32_e32 v19, 0xbf5db3d7, v26
	v_mov_b32_e32 v34, v20
	v_fmac_f32_e32 v30, 0x3f5db3d7, v26
	v_fmac_f32_e32 v36, 0x3f5db3d7, v35
	;; [unrolled: 1-line block ×3, first 2 shown]
	v_mul_f32_e32 v25, -0.5, v1
	v_mul_f32_e32 v26, -0.5, v5
	v_fmac_f32_e32 v20, 0x3f5db3d7, v27
	v_add_f32_e32 v21, v23, v28
	v_add_f32_e32 v22, v24, v29
	v_fmac_f32_e32 v34, 0xbf5db3d7, v27
	v_mul_f32_e32 v27, 0x3f5db3d7, v37
	v_fmac_f32_e32 v25, 0x3f5db3d7, v5
	v_mul_f32_e32 v5, 0xbf5db3d7, v36
	v_fmac_f32_e32 v26, 0xbf5db3d7, v1
	v_sub_f32_e32 v23, v23, v28
	v_sub_f32_e32 v24, v24, v29
	ds_write_b64 v31, v[21:22]
	ds_write_b64 v31, v[23:24] offset:9600
	v_fmac_f32_e32 v27, 0.5, v36
	v_add_f32_e32 v21, v19, v25
	v_fmac_f32_e32 v5, 0.5, v37
	v_add_f32_e32 v22, v20, v26
	v_sub_f32_e32 v19, v19, v25
	v_sub_f32_e32 v20, v20, v26
	v_add_f32_e32 v23, v30, v27
	v_add_f32_e32 v24, v34, v5
	v_sub_f32_e32 v25, v30, v27
	v_sub_f32_e32 v26, v34, v5
	ds_write_b64 v31, v[21:22] offset:6400
	ds_write_b64 v31, v[23:24] offset:3200
	;; [unrolled: 1-line block ×4, first 2 shown]
	s_and_saveexec_b64 s[4:5], vcc
	s_cbranch_execz .LBB0_19
; %bb.18:
	v_add_u32_e32 v1, 0xffffff60, v0
	v_cndmask_b32_e32 v1, v1, v4, vcc
	v_mul_i32_i24_e32 v19, 5, v1
	v_mov_b32_e32 v20, 0
	v_lshlrev_b64 v[19:20], 3, v[19:20]
	v_mov_b32_e32 v1, s9
	v_add_co_u32_e32 v27, vcc, s8, v19
	v_addc_co_u32_e32 v28, vcc, v1, v20, vcc
	global_load_dwordx4 v[19:22], v[27:28], off offset:3168
	global_load_dwordx4 v[23:26], v[27:28], off offset:3184
	global_load_dwordx2 v[29:30], v[27:28], off offset:3200
	s_waitcnt vmcnt(2)
	v_mul_f32_e32 v1, v18, v22
	s_waitcnt vmcnt(1)
	v_mul_f32_e32 v5, v8, v26
	v_mul_f32_e32 v26, v7, v26
	;; [unrolled: 1-line block ×3, first 2 shown]
	s_waitcnt vmcnt(0)
	v_mul_f32_e32 v34, v10, v30
	v_mul_f32_e32 v24, v15, v24
	v_mul_f32_e32 v30, v9, v30
	v_mul_f32_e32 v22, v17, v22
	v_mul_f32_e32 v27, v14, v20
	v_mul_f32_e32 v20, v13, v20
	v_fmac_f32_e32 v26, v8, v25
	v_fma_f32 v8, v15, v23, -v28
	v_fma_f32 v9, v9, v29, -v34
	v_fmac_f32_e32 v24, v16, v23
	v_fmac_f32_e32 v30, v10, v29
	v_fma_f32 v1, v17, v21, -v1
	v_fma_f32 v5, v7, v25, -v5
	v_fmac_f32_e32 v22, v18, v21
	v_fma_f32 v7, v13, v19, -v27
	v_fmac_f32_e32 v20, v14, v19
	v_add_f32_e32 v14, v8, v9
	v_add_f32_e32 v17, v24, v30
	v_sub_f32_e32 v13, v1, v5
	v_add_f32_e32 v10, v22, v26
	v_sub_f32_e32 v15, v24, v30
	v_sub_f32_e32 v16, v8, v9
	v_add_f32_e32 v21, v1, v5
	v_add_f32_e32 v1, v11, v1
	;; [unrolled: 1-line block ×3, first 2 shown]
	v_fma_f32 v14, -0.5, v14, v7
	v_fma_f32 v17, -0.5, v17, v20
	v_add_f32_e32 v18, v12, v22
	v_add_f32_e32 v19, v20, v24
	v_fma_f32 v12, -0.5, v10, v12
	v_fma_f32 v11, -0.5, v21, v11
	v_add_f32_e32 v1, v1, v5
	v_add_f32_e32 v5, v8, v9
	v_mov_b32_e32 v20, v14
	v_mov_b32_e32 v21, v17
	v_fmac_f32_e32 v17, 0xbf5db3d7, v16
	v_fmac_f32_e32 v14, 0x3f5db3d7, v15
	v_sub_f32_e32 v22, v22, v26
	v_add_f32_e32 v10, v18, v26
	v_add_f32_e32 v18, v19, v30
	v_mov_b32_e32 v19, v12
	v_sub_f32_e32 v7, v1, v5
	v_add_f32_e32 v9, v1, v5
	v_fmac_f32_e32 v20, 0xbf5db3d7, v15
	v_fmac_f32_e32 v21, 0x3f5db3d7, v16
	v_mul_f32_e32 v1, 0xbf5db3d7, v14
	v_mul_f32_e32 v5, 0x3f5db3d7, v17
	v_fmac_f32_e32 v12, 0xbf5db3d7, v13
	v_sub_f32_e32 v8, v10, v18
	v_mov_b32_e32 v23, v11
	v_fmac_f32_e32 v11, 0x3f5db3d7, v22
	v_add_f32_e32 v10, v10, v18
	v_fmac_f32_e32 v19, 0x3f5db3d7, v13
	v_mul_f32_e32 v13, -0.5, v21
	v_fmac_f32_e32 v1, 0.5, v17
	v_mul_f32_e32 v15, -0.5, v20
	v_fmac_f32_e32 v5, 0.5, v14
	v_fmac_f32_e32 v23, 0xbf5db3d7, v22
	ds_write_b64 v31, v[9:10] offset:1920
	ds_write_b64 v31, v[7:8] offset:11520
	v_fmac_f32_e32 v13, 0xbf5db3d7, v20
	v_fmac_f32_e32 v15, 0x3f5db3d7, v21
	v_add_f32_e32 v10, v12, v1
	v_add_f32_e32 v9, v11, v5
	v_sub_f32_e32 v8, v12, v1
	v_sub_f32_e32 v7, v11, v5
	;; [unrolled: 1-line block ×4, first 2 shown]
	v_add_f32_e32 v14, v19, v13
	v_add_f32_e32 v13, v23, v15
	ds_write_b64 v31, v[9:10] offset:5120
	ds_write_b64 v31, v[7:8] offset:14720
	;; [unrolled: 1-line block ×4, first 2 shown]
.LBB0_19:
	s_or_b64 exec, exec, s[4:5]
	s_waitcnt lgkmcnt(0)
	s_barrier
	ds_read_b64 v[10:11], v31
	s_add_u32 s6, s8, 0x4ae0
	v_lshlrev_b32_e32 v1, 3, v0
	s_addc_u32 s7, s9, 0
	v_sub_u32_e32 v12, 0, v1
	v_cmp_ne_u32_e32 vcc, 0, v0
                                        ; implicit-def: $vgpr8
                                        ; implicit-def: $vgpr1
                                        ; implicit-def: $vgpr13
	s_and_saveexec_b64 s[4:5], vcc
	s_xor_b64 s[4:5], exec, s[4:5]
	s_cbranch_execz .LBB0_21
; %bb.20:
	v_mov_b32_e32 v1, 0
	v_lshlrev_b64 v[7:8], 3, v[0:1]
	v_mov_b32_e32 v1, s7
	v_add_co_u32_e32 v7, vcc, s6, v7
	v_addc_co_u32_e32 v8, vcc, v1, v8, vcc
	global_load_dwordx2 v[7:8], v[7:8], off
	ds_read_b64 v[13:14], v12 offset:19200
	s_waitcnt lgkmcnt(0)
	v_sub_f32_e32 v9, v10, v13
	v_add_f32_e32 v5, v13, v10
	v_add_f32_e32 v1, v14, v11
	v_sub_f32_e32 v10, v11, v14
	v_mul_f32_e32 v9, 0.5, v9
	v_mul_f32_e32 v11, 0.5, v1
	v_mul_f32_e32 v1, 0.5, v10
	s_waitcnt vmcnt(0)
	v_mul_f32_e32 v10, v8, v9
	v_fma_f32 v13, v11, v8, v1
	v_fma_f32 v14, v11, v8, -v1
	v_fma_f32 v1, 0.5, v5, v10
	v_fma_f32 v5, v5, 0.5, -v10
	v_fma_f32 v13, -v7, v9, v13
	v_fmac_f32_e32 v1, v7, v11
	v_fma_f32 v8, -v7, v11, v5
	v_fma_f32 v9, -v7, v9, v14
                                        ; implicit-def: $vgpr10_vgpr11
.LBB0_21:
	s_andn2_saveexec_b64 s[4:5], s[4:5]
	s_cbranch_execz .LBB0_23
; %bb.22:
	v_mov_b32_e32 v13, 0
	ds_read_b32 v5, v13 offset:9604
	s_waitcnt lgkmcnt(1)
	v_add_f32_e32 v1, v10, v11
	v_sub_f32_e32 v8, v10, v11
	v_mov_b32_e32 v9, 0
	s_waitcnt lgkmcnt(0)
	v_xor_b32_e32 v5, 0x80000000, v5
	ds_write_b32 v13, v5 offset:9604
.LBB0_23:
	s_or_b64 exec, exec, s[4:5]
	v_mov_b32_e32 v5, 0
	s_waitcnt lgkmcnt(0)
	v_lshlrev_b64 v[10:11], 3, v[4:5]
	v_mov_b32_e32 v4, s7
	v_add_co_u32_e32 v10, vcc, s6, v10
	v_addc_co_u32_e32 v11, vcc, v4, v11, vcc
	global_load_dwordx2 v[10:11], v[10:11], off
	v_mov_b32_e32 v7, v5
	v_lshlrev_b64 v[6:7], 3, v[6:7]
	v_mov_b32_e32 v16, s7
	v_add_co_u32_e32 v6, vcc, s6, v6
	v_addc_co_u32_e32 v7, vcc, v4, v7, vcc
	v_add_u32_e32 v4, 0x2d0, v0
	v_lshlrev_b64 v[14:15], 3, v[4:5]
	v_add_u32_e32 v4, 0x3c0, v0
	v_add_co_u32_e32 v14, vcc, s6, v14
	v_addc_co_u32_e32 v15, vcc, v16, v15, vcc
	global_load_dwordx2 v[14:15], v[14:15], off
	v_lshlrev_b64 v[18:19], 3, v[4:5]
	global_load_dwordx2 v[6:7], v[6:7], off
	ds_write2_b32 v31, v1, v13 offset1:1
	ds_write_b64 v12, v[8:9] offset:19200
	v_mov_b32_e32 v1, s7
	v_add_co_u32_e32 v18, vcc, s6, v18
	v_addc_co_u32_e32 v19, vcc, v1, v19, vcc
	ds_read_b64 v[8:9], v33
	ds_read_b64 v[16:17], v12 offset:17280
	global_load_dwordx2 v[18:19], v[18:19], off
	s_waitcnt lgkmcnt(0)
	v_add_f32_e32 v1, v8, v16
	v_add_f32_e32 v4, v9, v17
	v_sub_f32_e32 v8, v8, v16
	v_sub_f32_e32 v9, v9, v17
	v_mul_f32_e32 v4, 0.5, v4
	v_mul_f32_e32 v8, 0.5, v8
	;; [unrolled: 1-line block ×3, first 2 shown]
	s_waitcnt vmcnt(3)
	v_mul_f32_e32 v13, v11, v8
	v_fma_f32 v16, v4, v11, v9
	v_fma_f32 v9, v4, v11, -v9
	v_fma_f32 v11, 0.5, v1, v13
	v_fma_f32 v16, -v10, v8, v16
	v_fma_f32 v1, v1, 0.5, -v13
	v_fma_f32 v8, -v10, v8, v9
	v_fmac_f32_e32 v11, v10, v4
	ds_write_b32 v33, v16 offset:4
	v_fma_f32 v1, -v10, v4, v1
	ds_write_b32 v12, v8 offset:17284
	ds_write_b32 v33, v11
	ds_write_b32 v12, v1 offset:17280
	ds_read_b64 v[8:9], v32
	ds_read_b64 v[10:11], v12 offset:15360
	s_waitcnt lgkmcnt(0)
	v_add_f32_e32 v1, v8, v10
	v_sub_f32_e32 v8, v8, v10
	v_add_f32_e32 v4, v9, v11
	v_sub_f32_e32 v9, v9, v11
	v_mul_f32_e32 v8, 0.5, v8
	v_mul_f32_e32 v4, 0.5, v4
	;; [unrolled: 1-line block ×3, first 2 shown]
	s_waitcnt vmcnt(1)
	v_mul_f32_e32 v10, v7, v8
	v_fma_f32 v11, v4, v7, v9
	v_fma_f32 v7, v4, v7, -v9
	v_fma_f32 v9, 0.5, v1, v10
	v_fma_f32 v11, -v6, v8, v11
	v_fma_f32 v1, v1, 0.5, -v10
	v_fmac_f32_e32 v9, v6, v4
	v_fma_f32 v7, -v6, v8, v7
	v_fma_f32 v6, -v6, v4, v1
	ds_write2_b32 v32, v9, v11 offset1:1
	ds_write_b64 v12, v[6:7] offset:15360
	ds_read_b64 v[6:7], v31 offset:5760
	ds_read_b64 v[8:9], v12 offset:13440
	v_add_u32_e32 v1, 0x1400, v31
	s_waitcnt lgkmcnt(0)
	v_add_f32_e32 v4, v6, v8
	v_sub_f32_e32 v6, v6, v8
	v_add_f32_e32 v10, v7, v9
	v_sub_f32_e32 v7, v7, v9
	v_mul_f32_e32 v6, 0.5, v6
	v_mul_f32_e32 v8, 0.5, v10
	;; [unrolled: 1-line block ×3, first 2 shown]
	v_mul_f32_e32 v9, v15, v6
	v_fma_f32 v10, v8, v15, v7
	v_fma_f32 v11, 0.5, v4, v9
	v_fma_f32 v7, v8, v15, -v7
	v_fma_f32 v10, -v14, v6, v10
	v_fma_f32 v4, v4, 0.5, -v9
	v_fmac_f32_e32 v11, v14, v8
	v_fma_f32 v7, -v14, v6, v7
	v_fma_f32 v6, -v14, v8, v4
	ds_write2_b32 v1, v11, v10 offset0:160 offset1:161
	ds_write_b64 v12, v[6:7] offset:13440
	ds_read_b64 v[6:7], v31 offset:7680
	ds_read_b64 v[8:9], v12 offset:11520
	v_add_u32_e32 v1, 0x1c00, v31
	s_waitcnt lgkmcnt(0)
	v_add_f32_e32 v4, v6, v8
	v_sub_f32_e32 v6, v6, v8
	v_add_f32_e32 v10, v7, v9
	v_sub_f32_e32 v7, v7, v9
	v_mul_f32_e32 v6, 0.5, v6
	v_mul_f32_e32 v8, 0.5, v10
	;; [unrolled: 1-line block ×3, first 2 shown]
	s_waitcnt vmcnt(0)
	v_mul_f32_e32 v9, v19, v6
	v_fma_f32 v10, v8, v19, v7
	v_fma_f32 v11, 0.5, v4, v9
	v_fma_f32 v7, v8, v19, -v7
	v_fma_f32 v10, -v18, v6, v10
	v_fma_f32 v4, v4, 0.5, -v9
	v_fmac_f32_e32 v11, v18, v8
	v_fma_f32 v7, -v18, v6, v7
	v_fma_f32 v6, -v18, v8, v4
	ds_write2_b32 v1, v11, v10 offset0:128 offset1:129
	ds_write_b64 v12, v[6:7] offset:11520
	s_waitcnt lgkmcnt(0)
	s_barrier
	s_and_saveexec_b64 s[4:5], s[0:1]
	s_cbranch_execz .LBB0_26
; %bb.24:
	v_mov_b32_e32 v1, v5
	ds_read2_b64 v[5:8], v31 offset1:240
	v_mov_b32_e32 v9, s3
	v_add_co_u32_e32 v4, vcc, s2, v2
	v_lshlrev_b64 v[13:14], 3, v[0:1]
	v_add_u32_e32 v1, 0xf00, v31
	v_addc_co_u32_e32 v2, vcc, v9, v3, vcc
	ds_read2_b64 v[9:12], v1 offset1:240
	v_add_co_u32_e32 v13, vcc, v4, v13
	v_addc_co_u32_e32 v14, vcc, v2, v14, vcc
	s_waitcnt lgkmcnt(1)
	global_store_dwordx2 v[13:14], v[5:6], off
	global_store_dwordx2 v[13:14], v[7:8], off offset:1920
	s_waitcnt lgkmcnt(0)
	global_store_dwordx2 v[13:14], v[9:10], off offset:3840
	v_add_u32_e32 v1, 0x1e00, v31
	ds_read2_b64 v[5:8], v1 offset1:240
	s_movk_i32 s0, 0x1000
	v_add_co_u32_e32 v9, vcc, s0, v13
	v_addc_co_u32_e32 v10, vcc, 0, v14, vcc
	global_store_dwordx2 v[9:10], v[11:12], off offset:1664
	s_waitcnt lgkmcnt(0)
	global_store_dwordx2 v[9:10], v[5:6], off offset:3584
	v_add_u32_e32 v1, 0x2d00, v31
	ds_read2_b64 v[9:12], v1 offset1:240
	s_movk_i32 s0, 0x2000
	v_add_co_u32_e32 v5, vcc, s0, v13
	v_addc_co_u32_e32 v6, vcc, 0, v14, vcc
	global_store_dwordx2 v[5:6], v[7:8], off offset:1408
	s_waitcnt lgkmcnt(0)
	global_store_dwordx2 v[5:6], v[9:10], off offset:3328
	v_add_u32_e32 v1, 0x3c00, v31
	ds_read2_b64 v[5:8], v1 offset1:240
	v_add_co_u32_e32 v9, vcc, 0x3000, v13
	v_addc_co_u32_e32 v10, vcc, 0, v14, vcc
	global_store_dwordx2 v[9:10], v[11:12], off offset:1152
	s_waitcnt lgkmcnt(0)
	global_store_dwordx2 v[9:10], v[5:6], off offset:3072
	v_add_co_u32_e32 v5, vcc, 0x4000, v13
	v_addc_co_u32_e32 v6, vcc, 0, v14, vcc
	s_movk_i32 s0, 0xef
	v_cmp_eq_u32_e32 vcc, s0, v0
	global_store_dwordx2 v[5:6], v[7:8], off offset:896
	s_and_b64 exec, exec, vcc
	s_cbranch_execz .LBB0_26
; %bb.25:
	v_mov_b32_e32 v0, 0
	ds_read_b64 v[0:1], v0 offset:19200
	v_add_co_u32_e32 v3, vcc, 0x4000, v4
	v_addc_co_u32_e32 v4, vcc, 0, v2, vcc
	s_waitcnt lgkmcnt(0)
	global_store_dwordx2 v[3:4], v[0:1], off offset:2816
.LBB0_26:
	s_endpgm
	.section	.rodata,"a",@progbits
	.p2align	6, 0x0
	.amdhsa_kernel fft_rtc_fwd_len2400_factors_4_10_10_6_wgs_240_tpt_240_halfLds_sp_ip_CI_unitstride_sbrr_R2C_dirReg
		.amdhsa_group_segment_fixed_size 0
		.amdhsa_private_segment_fixed_size 0
		.amdhsa_kernarg_size 88
		.amdhsa_user_sgpr_count 6
		.amdhsa_user_sgpr_private_segment_buffer 1
		.amdhsa_user_sgpr_dispatch_ptr 0
		.amdhsa_user_sgpr_queue_ptr 0
		.amdhsa_user_sgpr_kernarg_segment_ptr 1
		.amdhsa_user_sgpr_dispatch_id 0
		.amdhsa_user_sgpr_flat_scratch_init 0
		.amdhsa_user_sgpr_private_segment_size 0
		.amdhsa_uses_dynamic_stack 0
		.amdhsa_system_sgpr_private_segment_wavefront_offset 0
		.amdhsa_system_sgpr_workgroup_id_x 1
		.amdhsa_system_sgpr_workgroup_id_y 0
		.amdhsa_system_sgpr_workgroup_id_z 0
		.amdhsa_system_sgpr_workgroup_info 0
		.amdhsa_system_vgpr_workitem_id 0
		.amdhsa_next_free_vgpr 47
		.amdhsa_next_free_sgpr 22
		.amdhsa_reserve_vcc 1
		.amdhsa_reserve_flat_scratch 0
		.amdhsa_float_round_mode_32 0
		.amdhsa_float_round_mode_16_64 0
		.amdhsa_float_denorm_mode_32 3
		.amdhsa_float_denorm_mode_16_64 3
		.amdhsa_dx10_clamp 1
		.amdhsa_ieee_mode 1
		.amdhsa_fp16_overflow 0
		.amdhsa_exception_fp_ieee_invalid_op 0
		.amdhsa_exception_fp_denorm_src 0
		.amdhsa_exception_fp_ieee_div_zero 0
		.amdhsa_exception_fp_ieee_overflow 0
		.amdhsa_exception_fp_ieee_underflow 0
		.amdhsa_exception_fp_ieee_inexact 0
		.amdhsa_exception_int_div_zero 0
	.end_amdhsa_kernel
	.text
.Lfunc_end0:
	.size	fft_rtc_fwd_len2400_factors_4_10_10_6_wgs_240_tpt_240_halfLds_sp_ip_CI_unitstride_sbrr_R2C_dirReg, .Lfunc_end0-fft_rtc_fwd_len2400_factors_4_10_10_6_wgs_240_tpt_240_halfLds_sp_ip_CI_unitstride_sbrr_R2C_dirReg
                                        ; -- End function
	.section	.AMDGPU.csdata,"",@progbits
; Kernel info:
; codeLenInByte = 7004
; NumSgprs: 26
; NumVgprs: 47
; ScratchSize: 0
; MemoryBound: 0
; FloatMode: 240
; IeeeMode: 1
; LDSByteSize: 0 bytes/workgroup (compile time only)
; SGPRBlocks: 3
; VGPRBlocks: 11
; NumSGPRsForWavesPerEU: 26
; NumVGPRsForWavesPerEU: 47
; Occupancy: 5
; WaveLimiterHint : 1
; COMPUTE_PGM_RSRC2:SCRATCH_EN: 0
; COMPUTE_PGM_RSRC2:USER_SGPR: 6
; COMPUTE_PGM_RSRC2:TRAP_HANDLER: 0
; COMPUTE_PGM_RSRC2:TGID_X_EN: 1
; COMPUTE_PGM_RSRC2:TGID_Y_EN: 0
; COMPUTE_PGM_RSRC2:TGID_Z_EN: 0
; COMPUTE_PGM_RSRC2:TIDIG_COMP_CNT: 0
	.type	__hip_cuid_d003d555ee5ec753,@object ; @__hip_cuid_d003d555ee5ec753
	.section	.bss,"aw",@nobits
	.globl	__hip_cuid_d003d555ee5ec753
__hip_cuid_d003d555ee5ec753:
	.byte	0                               ; 0x0
	.size	__hip_cuid_d003d555ee5ec753, 1

	.ident	"AMD clang version 19.0.0git (https://github.com/RadeonOpenCompute/llvm-project roc-6.4.0 25133 c7fe45cf4b819c5991fe208aaa96edf142730f1d)"
	.section	".note.GNU-stack","",@progbits
	.addrsig
	.addrsig_sym __hip_cuid_d003d555ee5ec753
	.amdgpu_metadata
---
amdhsa.kernels:
  - .args:
      - .actual_access:  read_only
        .address_space:  global
        .offset:         0
        .size:           8
        .value_kind:     global_buffer
      - .offset:         8
        .size:           8
        .value_kind:     by_value
      - .actual_access:  read_only
        .address_space:  global
        .offset:         16
        .size:           8
        .value_kind:     global_buffer
      - .actual_access:  read_only
        .address_space:  global
        .offset:         24
        .size:           8
        .value_kind:     global_buffer
      - .offset:         32
        .size:           8
        .value_kind:     by_value
      - .actual_access:  read_only
        .address_space:  global
        .offset:         40
        .size:           8
        .value_kind:     global_buffer
      - .actual_access:  read_only
        .address_space:  global
        .offset:         48
        .size:           8
        .value_kind:     global_buffer
      - .offset:         56
        .size:           4
        .value_kind:     by_value
      - .actual_access:  read_only
        .address_space:  global
        .offset:         64
        .size:           8
        .value_kind:     global_buffer
      - .actual_access:  read_only
        .address_space:  global
        .offset:         72
        .size:           8
        .value_kind:     global_buffer
      - .address_space:  global
        .offset:         80
        .size:           8
        .value_kind:     global_buffer
    .group_segment_fixed_size: 0
    .kernarg_segment_align: 8
    .kernarg_segment_size: 88
    .language:       OpenCL C
    .language_version:
      - 2
      - 0
    .max_flat_workgroup_size: 240
    .name:           fft_rtc_fwd_len2400_factors_4_10_10_6_wgs_240_tpt_240_halfLds_sp_ip_CI_unitstride_sbrr_R2C_dirReg
    .private_segment_fixed_size: 0
    .sgpr_count:     26
    .sgpr_spill_count: 0
    .symbol:         fft_rtc_fwd_len2400_factors_4_10_10_6_wgs_240_tpt_240_halfLds_sp_ip_CI_unitstride_sbrr_R2C_dirReg.kd
    .uniform_work_group_size: 1
    .uses_dynamic_stack: false
    .vgpr_count:     47
    .vgpr_spill_count: 0
    .wavefront_size: 64
amdhsa.target:   amdgcn-amd-amdhsa--gfx906
amdhsa.version:
  - 1
  - 2
...

	.end_amdgpu_metadata
